;; amdgpu-corpus repo=zjin-lcf/HeCBench kind=compiled arch=gfx906 opt=O3
	.amdgcn_target "amdgcn-amd-amdhsa--gfx906"
	.amdhsa_code_object_version 6
	.text
	.protected	_Z7cenergyifPfPK15HIP_vector_typeIfLj4EE ; -- Begin function _Z7cenergyifPfPK15HIP_vector_typeIfLj4EE
	.globl	_Z7cenergyifPfPK15HIP_vector_typeIfLj4EE
	.p2align	8
	.type	_Z7cenergyifPfPK15HIP_vector_typeIfLj4EE,@function
_Z7cenergyifPfPK15HIP_vector_typeIfLj4EE: ; @_Z7cenergyifPfPK15HIP_vector_typeIfLj4EE
; %bb.0:
	s_load_dword s0, s[4:5], 0x24
	s_load_dwordx2 s[20:21], s[4:5], 0x0
	s_load_dwordx4 s[16:19], s[4:5], 0x8
	s_waitcnt lgkmcnt(0)
	s_lshr_b32 s1, s0, 16
	s_and_b32 s22, s0, 0xffff
	s_mul_i32 s6, s6, s22
	s_mul_i32 s7, s7, s1
	v_lshl_add_u32 v0, s6, 3, v0
	s_cmp_lt_i32 s20, 1
	v_add_u32_e32 v1, s7, v1
	s_cbranch_scc1 .LBB0_3
; %bb.1:
	v_cvt_f32_u32_e32 v2, v1
	v_cvt_f32_u32_e32 v3, v0
	v_mov_b32_e32 v4, 0x41000000
	s_add_u32 s18, s18, 8
	v_mul_f32_e32 v10, s21, v2
	v_mul_f32_e32 v11, s21, v3
	v_mul_f32_e32 v12, s21, v4
	s_addc_u32 s19, s19, 0
	v_mov_b32_e32 v9, 0
	s_mov_b32 s21, 0x800000
	v_mov_b32_e32 v8, 0
	v_mov_b32_e32 v7, 0
	;; [unrolled: 1-line block ×7, first 2 shown]
.LBB0_2:                                ; =>This Inner Loop Header: Depth=1
	s_add_u32 s0, s18, -8
	s_addc_u32 s1, s19, -1
	s_load_dwordx4 s[12:15], s[0:1], 0x0
	s_add_i32 s20, s20, -1
	s_add_u32 s18, s18, 16
	s_addc_u32 s19, s19, 0
	s_cmp_lg_u32 s20, 0
	s_waitcnt lgkmcnt(0)
	v_subrev_f32_e32 v13, s13, v10
	v_subrev_f32_e32 v14, s12, v11
	v_fma_f32 v13, v13, v13, s14
	v_add_f32_e32 v15, v12, v14
	v_add_f32_e32 v16, v12, v15
	v_fma_f32 v14, v14, v14, v13
	v_fma_f32 v15, v15, v15, v13
	v_add_f32_e32 v17, v12, v16
	v_mul_f32_e32 v18, 0x4b800000, v14
	v_cmp_gt_f32_e32 vcc, s21, v14
	v_fma_f32 v16, v16, v16, v13
	v_mul_f32_e32 v19, 0x4b800000, v15
	v_cmp_gt_f32_e64 s[0:1], s21, v15
	v_add_f32_e32 v20, v12, v17
	v_cndmask_b32_e32 v14, v14, v18, vcc
	v_mul_f32_e32 v18, 0x4b800000, v16
	v_cmp_gt_f32_e64 s[2:3], s21, v16
	v_fma_f32 v17, v17, v17, v13
	v_cndmask_b32_e64 v15, v15, v19, s[0:1]
	v_add_f32_e32 v19, v12, v20
	v_cndmask_b32_e64 v16, v16, v18, s[2:3]
	v_mul_f32_e32 v18, 0x4b800000, v17
	v_cmp_gt_f32_e64 s[6:7], s21, v17
	v_fma_f32 v20, v20, v20, v13
	v_rsq_f32_e32 v14, v14
	v_add_f32_e32 v21, v12, v19
	v_cndmask_b32_e64 v17, v17, v18, s[6:7]
	v_mul_f32_e32 v18, 0x4b800000, v20
	v_fma_f32 v19, v19, v19, v13
	v_cmp_gt_f32_e64 s[8:9], s21, v20
	v_rsq_f32_e32 v15, v15
	v_cndmask_b32_e64 v18, v20, v18, s[8:9]
	v_mul_f32_e32 v20, 0x4b800000, v19
	v_cmp_gt_f32_e64 s[10:11], s21, v19
	v_cndmask_b32_e64 v19, v19, v20, s[10:11]
	v_add_f32_e32 v20, v12, v21
	v_fma_f32 v21, v21, v21, v13
	v_rsq_f32_e32 v16, v16
	v_fmac_f32_e32 v13, v20, v20
	v_mul_f32_e32 v20, 0x4b800000, v21
	v_cmp_gt_f32_e64 s[12:13], s21, v21
	v_rsq_f32_e32 v17, v17
	v_cndmask_b32_e64 v20, v21, v20, s[12:13]
	v_mul_f32_e32 v21, 0x45800000, v14
	v_rsq_f32_e32 v18, v18
	v_cndmask_b32_e32 v14, v14, v21, vcc
	v_mul_f32_e32 v21, 0x45800000, v15
	v_rsq_f32_e32 v19, v19
	v_cndmask_b32_e64 v15, v15, v21, s[0:1]
	v_mul_f32_e32 v21, 0x4b800000, v13
	v_cmp_gt_f32_e32 vcc, s21, v13
	v_cndmask_b32_e32 v13, v13, v21, vcc
	v_mul_f32_e32 v21, 0x45800000, v16
	v_rsq_f32_e32 v20, v20
	v_fmac_f32_e32 v9, s15, v14
	v_fmac_f32_e32 v8, s15, v15
	v_cndmask_b32_e64 v14, v16, v21, s[2:3]
	v_mul_f32_e32 v15, 0x45800000, v17
	v_rsq_f32_e32 v13, v13
	v_fmac_f32_e32 v7, s15, v14
	v_cndmask_b32_e64 v14, v17, v15, s[6:7]
	v_mul_f32_e32 v15, 0x45800000, v18
	v_fmac_f32_e32 v6, s15, v14
	v_cndmask_b32_e64 v14, v18, v15, s[8:9]
	v_mul_f32_e32 v15, 0x45800000, v19
	;; [unrolled: 3-line block ×4, first 2 shown]
	v_cndmask_b32_e32 v13, v13, v15, vcc
	v_fmac_f32_e32 v3, s15, v14
	v_fmac_f32_e32 v2, s15, v13
	s_cbranch_scc1 .LBB0_2
	s_branch .LBB0_4
.LBB0_3:
	v_mov_b32_e32 v9, 0
	v_mov_b32_e32 v8, 0
	;; [unrolled: 1-line block ×8, first 2 shown]
.LBB0_4:
	s_load_dword s0, s[4:5], 0x18
	v_mov_b32_e32 v12, s17
	s_waitcnt lgkmcnt(0)
	s_mul_i32 s0, s0, s22
	v_mul_lo_u32 v1, s0, v1
	v_lshl_add_u32 v0, v1, 3, v0
	v_mov_b32_e32 v1, 0
	v_lshlrev_b64 v[10:11], 2, v[0:1]
	v_add_co_u32_e32 v10, vcc, s16, v10
	v_addc_co_u32_e32 v11, vcc, v12, v11, vcc
	global_load_dword v12, v[10:11], off
	s_waitcnt vmcnt(0)
	v_add_f32_e32 v9, v9, v12
	global_store_dword v[10:11], v9, off
	v_add_u32_e32 v9, 8, v0
	v_mov_b32_e32 v10, v1
	v_lshlrev_b64 v[9:10], 2, v[9:10]
	v_mov_b32_e32 v11, s17
	v_add_co_u32_e32 v9, vcc, s16, v9
	v_addc_co_u32_e32 v10, vcc, v11, v10, vcc
	global_load_dword v11, v[9:10], off
	s_waitcnt vmcnt(0)
	v_add_f32_e32 v8, v8, v11
	global_store_dword v[9:10], v8, off
	v_add_u32_e32 v8, 16, v0
	v_mov_b32_e32 v9, v1
	v_lshlrev_b64 v[8:9], 2, v[8:9]
	v_mov_b32_e32 v10, s17
	;; [unrolled: 10-line block ×6, first 2 shown]
	v_add_co_u32_e32 v4, vcc, s16, v4
	v_addc_co_u32_e32 v5, vcc, v6, v5, vcc
	global_load_dword v6, v[4:5], off
	v_add_u32_e32 v0, 56, v0
	v_lshlrev_b64 v[0:1], 2, v[0:1]
	v_add_co_u32_e32 v0, vcc, s16, v0
	s_waitcnt vmcnt(0)
	v_add_f32_e32 v3, v3, v6
	global_store_dword v[4:5], v3, off
	v_mov_b32_e32 v3, s17
	v_addc_co_u32_e32 v1, vcc, v3, v1, vcc
	global_load_dword v3, v[0:1], off
	s_waitcnt vmcnt(0)
	v_add_f32_e32 v2, v2, v3
	global_store_dword v[0:1], v2, off
	s_endpgm
	.section	.rodata,"a",@progbits
	.p2align	6, 0x0
	.amdhsa_kernel _Z7cenergyifPfPK15HIP_vector_typeIfLj4EE
		.amdhsa_group_segment_fixed_size 0
		.amdhsa_private_segment_fixed_size 0
		.amdhsa_kernarg_size 280
		.amdhsa_user_sgpr_count 6
		.amdhsa_user_sgpr_private_segment_buffer 1
		.amdhsa_user_sgpr_dispatch_ptr 0
		.amdhsa_user_sgpr_queue_ptr 0
		.amdhsa_user_sgpr_kernarg_segment_ptr 1
		.amdhsa_user_sgpr_dispatch_id 0
		.amdhsa_user_sgpr_flat_scratch_init 0
		.amdhsa_user_sgpr_private_segment_size 0
		.amdhsa_uses_dynamic_stack 0
		.amdhsa_system_sgpr_private_segment_wavefront_offset 0
		.amdhsa_system_sgpr_workgroup_id_x 1
		.amdhsa_system_sgpr_workgroup_id_y 1
		.amdhsa_system_sgpr_workgroup_id_z 0
		.amdhsa_system_sgpr_workgroup_info 0
		.amdhsa_system_vgpr_workitem_id 1
		.amdhsa_next_free_vgpr 22
		.amdhsa_next_free_sgpr 23
		.amdhsa_reserve_vcc 1
		.amdhsa_reserve_flat_scratch 0
		.amdhsa_float_round_mode_32 0
		.amdhsa_float_round_mode_16_64 0
		.amdhsa_float_denorm_mode_32 3
		.amdhsa_float_denorm_mode_16_64 3
		.amdhsa_dx10_clamp 1
		.amdhsa_ieee_mode 1
		.amdhsa_fp16_overflow 0
		.amdhsa_exception_fp_ieee_invalid_op 0
		.amdhsa_exception_fp_denorm_src 0
		.amdhsa_exception_fp_ieee_div_zero 0
		.amdhsa_exception_fp_ieee_overflow 0
		.amdhsa_exception_fp_ieee_underflow 0
		.amdhsa_exception_fp_ieee_inexact 0
		.amdhsa_exception_int_div_zero 0
	.end_amdhsa_kernel
	.text
.Lfunc_end0:
	.size	_Z7cenergyifPfPK15HIP_vector_typeIfLj4EE, .Lfunc_end0-_Z7cenergyifPfPK15HIP_vector_typeIfLj4EE
                                        ; -- End function
	.set _Z7cenergyifPfPK15HIP_vector_typeIfLj4EE.num_vgpr, 22
	.set _Z7cenergyifPfPK15HIP_vector_typeIfLj4EE.num_agpr, 0
	.set _Z7cenergyifPfPK15HIP_vector_typeIfLj4EE.numbered_sgpr, 23
	.set _Z7cenergyifPfPK15HIP_vector_typeIfLj4EE.num_named_barrier, 0
	.set _Z7cenergyifPfPK15HIP_vector_typeIfLj4EE.private_seg_size, 0
	.set _Z7cenergyifPfPK15HIP_vector_typeIfLj4EE.uses_vcc, 1
	.set _Z7cenergyifPfPK15HIP_vector_typeIfLj4EE.uses_flat_scratch, 0
	.set _Z7cenergyifPfPK15HIP_vector_typeIfLj4EE.has_dyn_sized_stack, 0
	.set _Z7cenergyifPfPK15HIP_vector_typeIfLj4EE.has_recursion, 0
	.set _Z7cenergyifPfPK15HIP_vector_typeIfLj4EE.has_indirect_call, 0
	.section	.AMDGPU.csdata,"",@progbits
; Kernel info:
; codeLenInByte = 1128
; TotalNumSgprs: 27
; NumVgprs: 22
; ScratchSize: 0
; MemoryBound: 0
; FloatMode: 240
; IeeeMode: 1
; LDSByteSize: 0 bytes/workgroup (compile time only)
; SGPRBlocks: 3
; VGPRBlocks: 5
; NumSGPRsForWavesPerEU: 27
; NumVGPRsForWavesPerEU: 22
; Occupancy: 10
; WaveLimiterHint : 0
; COMPUTE_PGM_RSRC2:SCRATCH_EN: 0
; COMPUTE_PGM_RSRC2:USER_SGPR: 6
; COMPUTE_PGM_RSRC2:TRAP_HANDLER: 0
; COMPUTE_PGM_RSRC2:TGID_X_EN: 1
; COMPUTE_PGM_RSRC2:TGID_Y_EN: 1
; COMPUTE_PGM_RSRC2:TGID_Z_EN: 0
; COMPUTE_PGM_RSRC2:TIDIG_COMP_CNT: 1
	.section	.AMDGPU.gpr_maximums,"",@progbits
	.set amdgpu.max_num_vgpr, 0
	.set amdgpu.max_num_agpr, 0
	.set amdgpu.max_num_sgpr, 0
	.section	.AMDGPU.csdata,"",@progbits
	.type	__hip_cuid_fa0ff0677fbe4981,@object ; @__hip_cuid_fa0ff0677fbe4981
	.section	.bss,"aw",@nobits
	.globl	__hip_cuid_fa0ff0677fbe4981
__hip_cuid_fa0ff0677fbe4981:
	.byte	0                               ; 0x0
	.size	__hip_cuid_fa0ff0677fbe4981, 1

	.ident	"AMD clang version 22.0.0git (https://github.com/RadeonOpenCompute/llvm-project roc-7.2.4 26084 f58b06dce1f9c15707c5f808fd002e18c2accf7e)"
	.section	".note.GNU-stack","",@progbits
	.addrsig
	.addrsig_sym __hip_cuid_fa0ff0677fbe4981
	.amdgpu_metadata
---
amdhsa.kernels:
  - .args:
      - .offset:         0
        .size:           4
        .value_kind:     by_value
      - .offset:         4
        .size:           4
        .value_kind:     by_value
      - .address_space:  global
        .offset:         8
        .size:           8
        .value_kind:     global_buffer
      - .address_space:  global
        .offset:         16
        .size:           8
        .value_kind:     global_buffer
      - .offset:         24
        .size:           4
        .value_kind:     hidden_block_count_x
      - .offset:         28
        .size:           4
        .value_kind:     hidden_block_count_y
      - .offset:         32
        .size:           4
        .value_kind:     hidden_block_count_z
      - .offset:         36
        .size:           2
        .value_kind:     hidden_group_size_x
      - .offset:         38
        .size:           2
        .value_kind:     hidden_group_size_y
      - .offset:         40
        .size:           2
        .value_kind:     hidden_group_size_z
      - .offset:         42
        .size:           2
        .value_kind:     hidden_remainder_x
      - .offset:         44
        .size:           2
        .value_kind:     hidden_remainder_y
      - .offset:         46
        .size:           2
        .value_kind:     hidden_remainder_z
      - .offset:         64
        .size:           8
        .value_kind:     hidden_global_offset_x
      - .offset:         72
        .size:           8
        .value_kind:     hidden_global_offset_y
      - .offset:         80
        .size:           8
        .value_kind:     hidden_global_offset_z
      - .offset:         88
        .size:           2
        .value_kind:     hidden_grid_dims
    .group_segment_fixed_size: 0
    .kernarg_segment_align: 8
    .kernarg_segment_size: 280
    .language:       OpenCL C
    .language_version:
      - 2
      - 0
    .max_flat_workgroup_size: 1024
    .name:           _Z7cenergyifPfPK15HIP_vector_typeIfLj4EE
    .private_segment_fixed_size: 0
    .sgpr_count:     27
    .sgpr_spill_count: 0
    .symbol:         _Z7cenergyifPfPK15HIP_vector_typeIfLj4EE.kd
    .uniform_work_group_size: 1
    .uses_dynamic_stack: false
    .vgpr_count:     22
    .vgpr_spill_count: 0
    .wavefront_size: 64
amdhsa.target:   amdgcn-amd-amdhsa--gfx906
amdhsa.version:
  - 1
  - 2
...

	.end_amdgpu_metadata
